;; amdgpu-corpus repo=ROCm/rocFFT kind=compiled arch=gfx1030 opt=O3
	.text
	.amdgcn_target "amdgcn-amd-amdhsa--gfx1030"
	.amdhsa_code_object_version 6
	.protected	fft_rtc_fwd_len2916_factors_6_6_3_3_3_3_wgs_243_tpt_243_halfLds_sp_op_CI_CI_unitstride_sbrr_C2R_dirReg ; -- Begin function fft_rtc_fwd_len2916_factors_6_6_3_3_3_3_wgs_243_tpt_243_halfLds_sp_op_CI_CI_unitstride_sbrr_C2R_dirReg
	.globl	fft_rtc_fwd_len2916_factors_6_6_3_3_3_3_wgs_243_tpt_243_halfLds_sp_op_CI_CI_unitstride_sbrr_C2R_dirReg
	.p2align	8
	.type	fft_rtc_fwd_len2916_factors_6_6_3_3_3_3_wgs_243_tpt_243_halfLds_sp_op_CI_CI_unitstride_sbrr_C2R_dirReg,@function
fft_rtc_fwd_len2916_factors_6_6_3_3_3_3_wgs_243_tpt_243_halfLds_sp_op_CI_CI_unitstride_sbrr_C2R_dirReg: ; @fft_rtc_fwd_len2916_factors_6_6_3_3_3_3_wgs_243_tpt_243_halfLds_sp_op_CI_CI_unitstride_sbrr_C2R_dirReg
; %bb.0:
	s_clause 0x2
	s_load_dwordx4 s[12:15], s[4:5], 0x0
	s_load_dwordx4 s[8:11], s[4:5], 0x58
	;; [unrolled: 1-line block ×3, first 2 shown]
	v_mul_u32_u24_e32 v1, 0x10e, v0
	v_mov_b32_e32 v3, 0
	v_mov_b32_e32 v7, 0
	;; [unrolled: 1-line block ×3, first 2 shown]
	v_add_nc_u32_sdwa v9, s6, v1 dst_sel:DWORD dst_unused:UNUSED_PAD src0_sel:DWORD src1_sel:WORD_1
	v_mov_b32_e32 v10, v3
	s_waitcnt lgkmcnt(0)
	v_cmp_lt_u64_e64 s0, s[14:15], 2
	s_and_b32 vcc_lo, exec_lo, s0
	s_cbranch_vccnz .LBB0_8
; %bb.1:
	s_load_dwordx2 s[0:1], s[4:5], 0x10
	v_mov_b32_e32 v7, 0
	v_mov_b32_e32 v8, 0
	s_add_u32 s2, s18, 8
	s_addc_u32 s3, s19, 0
	v_mov_b32_e32 v1, v7
	s_add_u32 s6, s16, 8
	v_mov_b32_e32 v2, v8
	s_addc_u32 s7, s17, 0
	s_mov_b64 s[22:23], 1
	s_waitcnt lgkmcnt(0)
	s_add_u32 s20, s0, 8
	s_addc_u32 s21, s1, 0
.LBB0_2:                                ; =>This Inner Loop Header: Depth=1
	s_load_dwordx2 s[24:25], s[20:21], 0x0
                                        ; implicit-def: $vgpr5_vgpr6
	s_mov_b32 s0, exec_lo
	s_waitcnt lgkmcnt(0)
	v_or_b32_e32 v4, s25, v10
	v_cmpx_ne_u64_e32 0, v[3:4]
	s_xor_b32 s1, exec_lo, s0
	s_cbranch_execz .LBB0_4
; %bb.3:                                ;   in Loop: Header=BB0_2 Depth=1
	v_cvt_f32_u32_e32 v4, s24
	v_cvt_f32_u32_e32 v5, s25
	s_sub_u32 s0, 0, s24
	s_subb_u32 s26, 0, s25
	v_fmac_f32_e32 v4, 0x4f800000, v5
	v_rcp_f32_e32 v4, v4
	v_mul_f32_e32 v4, 0x5f7ffffc, v4
	v_mul_f32_e32 v5, 0x2f800000, v4
	v_trunc_f32_e32 v5, v5
	v_fmac_f32_e32 v4, 0xcf800000, v5
	v_cvt_u32_f32_e32 v5, v5
	v_cvt_u32_f32_e32 v4, v4
	v_mul_lo_u32 v6, s0, v5
	v_mul_hi_u32 v11, s0, v4
	v_mul_lo_u32 v12, s26, v4
	v_add_nc_u32_e32 v6, v11, v6
	v_mul_lo_u32 v11, s0, v4
	v_add_nc_u32_e32 v6, v6, v12
	v_mul_hi_u32 v12, v4, v11
	v_mul_lo_u32 v13, v4, v6
	v_mul_hi_u32 v14, v4, v6
	v_mul_hi_u32 v15, v5, v11
	v_mul_lo_u32 v11, v5, v11
	v_mul_hi_u32 v16, v5, v6
	v_mul_lo_u32 v6, v5, v6
	v_add_co_u32 v12, vcc_lo, v12, v13
	v_add_co_ci_u32_e32 v13, vcc_lo, 0, v14, vcc_lo
	v_add_co_u32 v11, vcc_lo, v12, v11
	v_add_co_ci_u32_e32 v11, vcc_lo, v13, v15, vcc_lo
	v_add_co_ci_u32_e32 v12, vcc_lo, 0, v16, vcc_lo
	v_add_co_u32 v6, vcc_lo, v11, v6
	v_add_co_ci_u32_e32 v11, vcc_lo, 0, v12, vcc_lo
	v_add_co_u32 v4, vcc_lo, v4, v6
	v_add_co_ci_u32_e32 v5, vcc_lo, v5, v11, vcc_lo
	v_mul_hi_u32 v6, s0, v4
	v_mul_lo_u32 v12, s26, v4
	v_mul_lo_u32 v11, s0, v5
	v_add_nc_u32_e32 v6, v6, v11
	v_mul_lo_u32 v11, s0, v4
	v_add_nc_u32_e32 v6, v6, v12
	v_mul_hi_u32 v12, v4, v11
	v_mul_lo_u32 v13, v4, v6
	v_mul_hi_u32 v14, v4, v6
	v_mul_hi_u32 v15, v5, v11
	v_mul_lo_u32 v11, v5, v11
	v_mul_hi_u32 v16, v5, v6
	v_mul_lo_u32 v6, v5, v6
	v_add_co_u32 v12, vcc_lo, v12, v13
	v_add_co_ci_u32_e32 v13, vcc_lo, 0, v14, vcc_lo
	v_add_co_u32 v11, vcc_lo, v12, v11
	v_add_co_ci_u32_e32 v11, vcc_lo, v13, v15, vcc_lo
	v_add_co_ci_u32_e32 v12, vcc_lo, 0, v16, vcc_lo
	v_add_co_u32 v6, vcc_lo, v11, v6
	v_add_co_ci_u32_e32 v11, vcc_lo, 0, v12, vcc_lo
	v_add_co_u32 v6, vcc_lo, v4, v6
	v_add_co_ci_u32_e32 v13, vcc_lo, v5, v11, vcc_lo
	v_mul_hi_u32 v15, v9, v6
	v_mad_u64_u32 v[11:12], null, v10, v6, 0
	v_mad_u64_u32 v[4:5], null, v9, v13, 0
	;; [unrolled: 1-line block ×3, first 2 shown]
	v_add_co_u32 v4, vcc_lo, v15, v4
	v_add_co_ci_u32_e32 v5, vcc_lo, 0, v5, vcc_lo
	v_add_co_u32 v4, vcc_lo, v4, v11
	v_add_co_ci_u32_e32 v4, vcc_lo, v5, v12, vcc_lo
	v_add_co_ci_u32_e32 v5, vcc_lo, 0, v14, vcc_lo
	v_add_co_u32 v11, vcc_lo, v4, v13
	v_add_co_ci_u32_e32 v6, vcc_lo, 0, v5, vcc_lo
	v_mul_lo_u32 v12, s25, v11
	v_mad_u64_u32 v[4:5], null, s24, v11, 0
	v_mul_lo_u32 v13, s24, v6
	v_sub_co_u32 v4, vcc_lo, v9, v4
	v_add3_u32 v5, v5, v13, v12
	v_sub_nc_u32_e32 v12, v10, v5
	v_subrev_co_ci_u32_e64 v12, s0, s25, v12, vcc_lo
	v_add_co_u32 v13, s0, v11, 2
	v_add_co_ci_u32_e64 v14, s0, 0, v6, s0
	v_sub_co_u32 v15, s0, v4, s24
	v_sub_co_ci_u32_e32 v5, vcc_lo, v10, v5, vcc_lo
	v_subrev_co_ci_u32_e64 v12, s0, 0, v12, s0
	v_cmp_le_u32_e32 vcc_lo, s24, v15
	v_cmp_eq_u32_e64 s0, s25, v5
	v_cndmask_b32_e64 v15, 0, -1, vcc_lo
	v_cmp_le_u32_e32 vcc_lo, s25, v12
	v_cndmask_b32_e64 v16, 0, -1, vcc_lo
	v_cmp_le_u32_e32 vcc_lo, s24, v4
	;; [unrolled: 2-line block ×3, first 2 shown]
	v_cndmask_b32_e64 v17, 0, -1, vcc_lo
	v_cmp_eq_u32_e32 vcc_lo, s25, v12
	v_cndmask_b32_e64 v4, v17, v4, s0
	v_cndmask_b32_e32 v12, v16, v15, vcc_lo
	v_add_co_u32 v15, vcc_lo, v11, 1
	v_add_co_ci_u32_e32 v16, vcc_lo, 0, v6, vcc_lo
	v_cmp_ne_u32_e32 vcc_lo, 0, v12
	v_cndmask_b32_e32 v5, v16, v14, vcc_lo
	v_cndmask_b32_e32 v12, v15, v13, vcc_lo
	v_cmp_ne_u32_e32 vcc_lo, 0, v4
	v_cndmask_b32_e32 v6, v6, v5, vcc_lo
	v_cndmask_b32_e32 v5, v11, v12, vcc_lo
.LBB0_4:                                ;   in Loop: Header=BB0_2 Depth=1
	s_andn2_saveexec_b32 s0, s1
	s_cbranch_execz .LBB0_6
; %bb.5:                                ;   in Loop: Header=BB0_2 Depth=1
	v_cvt_f32_u32_e32 v4, s24
	s_sub_i32 s1, 0, s24
	v_rcp_iflag_f32_e32 v4, v4
	v_mul_f32_e32 v4, 0x4f7ffffe, v4
	v_cvt_u32_f32_e32 v4, v4
	v_mul_lo_u32 v5, s1, v4
	v_mul_hi_u32 v5, v4, v5
	v_add_nc_u32_e32 v4, v4, v5
	v_mul_hi_u32 v4, v9, v4
	v_mul_lo_u32 v5, v4, s24
	v_add_nc_u32_e32 v6, 1, v4
	v_sub_nc_u32_e32 v5, v9, v5
	v_subrev_nc_u32_e32 v11, s24, v5
	v_cmp_le_u32_e32 vcc_lo, s24, v5
	v_cndmask_b32_e32 v5, v5, v11, vcc_lo
	v_cndmask_b32_e32 v4, v4, v6, vcc_lo
	v_cmp_le_u32_e32 vcc_lo, s24, v5
	v_add_nc_u32_e32 v6, 1, v4
	v_cndmask_b32_e32 v5, v4, v6, vcc_lo
	v_mov_b32_e32 v6, v3
.LBB0_6:                                ;   in Loop: Header=BB0_2 Depth=1
	s_or_b32 exec_lo, exec_lo, s0
	v_mul_lo_u32 v4, v6, s24
	v_mul_lo_u32 v13, v5, s25
	s_load_dwordx2 s[0:1], s[6:7], 0x0
	v_mad_u64_u32 v[11:12], null, v5, s24, 0
	s_load_dwordx2 s[24:25], s[2:3], 0x0
	s_add_u32 s22, s22, 1
	s_addc_u32 s23, s23, 0
	s_add_u32 s2, s2, 8
	s_addc_u32 s3, s3, 0
	s_add_u32 s6, s6, 8
	v_add3_u32 v4, v12, v13, v4
	v_sub_co_u32 v9, vcc_lo, v9, v11
	s_addc_u32 s7, s7, 0
	s_add_u32 s20, s20, 8
	v_sub_co_ci_u32_e32 v4, vcc_lo, v10, v4, vcc_lo
	s_addc_u32 s21, s21, 0
	s_waitcnt lgkmcnt(0)
	v_mul_lo_u32 v10, s0, v4
	v_mul_lo_u32 v11, s1, v9
	v_mad_u64_u32 v[7:8], null, s0, v9, v[7:8]
	v_mul_lo_u32 v4, s24, v4
	v_mul_lo_u32 v12, s25, v9
	v_mad_u64_u32 v[1:2], null, s24, v9, v[1:2]
	v_cmp_ge_u64_e64 s0, s[22:23], s[14:15]
	v_add3_u32 v8, v11, v8, v10
	v_add3_u32 v2, v12, v2, v4
	s_and_b32 vcc_lo, exec_lo, s0
	s_cbranch_vccnz .LBB0_9
; %bb.7:                                ;   in Loop: Header=BB0_2 Depth=1
	v_mov_b32_e32 v10, v6
	v_mov_b32_e32 v9, v5
	s_branch .LBB0_2
.LBB0_8:
	v_mov_b32_e32 v1, v7
	v_mov_b32_e32 v5, v9
	;; [unrolled: 1-line block ×4, first 2 shown]
.LBB0_9:
	s_load_dwordx2 s[0:1], s[4:5], 0x28
	v_mul_hi_u32 v4, 0x10db20b, v0
	s_lshl_b64 s[4:5], s[14:15], 3
                                        ; implicit-def: $vgpr3
	s_add_u32 s2, s18, s4
	s_addc_u32 s3, s19, s5
	s_waitcnt lgkmcnt(0)
	v_cmp_gt_u64_e32 vcc_lo, s[0:1], v[5:6]
	v_cmp_le_u64_e64 s0, s[0:1], v[5:6]
	s_and_saveexec_b32 s1, s0
	s_xor_b32 s0, exec_lo, s1
; %bb.10:
	v_mul_u32_u24_e32 v3, 0xf3, v4
                                        ; implicit-def: $vgpr4
                                        ; implicit-def: $vgpr7_vgpr8
	v_sub_nc_u32_e32 v3, v0, v3
                                        ; implicit-def: $vgpr0
; %bb.11:
	s_or_saveexec_b32 s1, s0
	s_load_dwordx2 s[2:3], s[2:3], 0x0
	s_xor_b32 exec_lo, exec_lo, s1
	s_cbranch_execz .LBB0_15
; %bb.12:
	s_add_u32 s4, s16, s4
	s_addc_u32 s5, s17, s5
	v_lshlrev_b64 v[7:8], 3, v[7:8]
	s_load_dwordx2 s[4:5], s[4:5], 0x0
	s_waitcnt lgkmcnt(0)
	v_mul_lo_u32 v3, s5, v5
	v_mul_lo_u32 v11, s4, v6
	v_mad_u64_u32 v[9:10], null, s4, v5, 0
	s_mov_b32 s4, exec_lo
	v_add3_u32 v10, v10, v11, v3
	v_mul_u32_u24_e32 v3, 0xf3, v4
	v_lshlrev_b64 v[9:10], 3, v[9:10]
	v_sub_nc_u32_e32 v3, v0, v3
	v_lshlrev_b32_e32 v31, 3, v3
	v_add_co_u32 v0, s0, s8, v9
	v_add_co_ci_u32_e64 v4, s0, s9, v10, s0
	v_add_co_u32 v0, s0, v0, v7
	v_add_co_ci_u32_e64 v4, s0, v4, v8, s0
	;; [unrolled: 2-line block ×3, first 2 shown]
	v_add_nc_u32_e32 v31, 0, v31
	v_add_co_u32 v9, s0, 0x800, v7
	v_add_co_ci_u32_e64 v10, s0, 0, v8, s0
	v_add_co_u32 v11, s0, 0x1000, v7
	v_add_co_ci_u32_e64 v12, s0, 0, v8, s0
	;; [unrolled: 2-line block ×9, first 2 shown]
	s_clause 0x3
	global_load_dwordx2 v[25:26], v[7:8], off
	global_load_dwordx2 v[27:28], v[7:8], off offset:1944
	global_load_dwordx2 v[9:10], v[9:10], off offset:1840
	;; [unrolled: 1-line block ×3, first 2 shown]
	v_add_co_u32 v7, s0, 0x5000, v7
	v_add_co_ci_u32_e64 v8, s0, 0, v8, s0
	s_clause 0x7
	global_load_dwordx2 v[13:14], v[13:14], off offset:1632
	global_load_dwordx2 v[15:16], v[15:16], off offset:1528
	global_load_dwordx2 v[17:18], v[17:18], off offset:1424
	global_load_dwordx2 v[19:20], v[19:20], off offset:1320
	global_load_dwordx2 v[21:22], v[21:22], off offset:1216
	global_load_dwordx2 v[23:24], v[23:24], off offset:1112
	global_load_dwordx2 v[29:30], v[29:30], off offset:1008
	global_load_dwordx2 v[7:8], v[7:8], off offset:904
	v_add_nc_u32_e32 v32, 0xf00, v31
	v_add_nc_u32_e32 v33, 0x1e00, v31
	;; [unrolled: 1-line block ×5, first 2 shown]
	s_waitcnt vmcnt(10)
	ds_write2_b64 v31, v[25:26], v[27:28] offset1:243
	s_waitcnt vmcnt(8)
	ds_write2_b64 v32, v[9:10], v[11:12] offset0:6 offset1:249
	s_waitcnt vmcnt(6)
	ds_write2_b64 v33, v[13:14], v[15:16] offset0:12 offset1:255
	;; [unrolled: 2-line block ×5, first 2 shown]
	v_cmpx_eq_u32_e32 0xf2, v3
	s_cbranch_execz .LBB0_14
; %bb.13:
	v_add_co_u32 v3, s0, 0x5800, v0
	v_add_co_ci_u32_e64 v4, s0, 0, v4, s0
	v_mov_b32_e32 v0, 0
	global_load_dwordx2 v[7:8], v[3:4], off offset:800
	v_mov_b32_e32 v3, 0xf2
	s_waitcnt vmcnt(0)
	ds_write_b64 v0, v[7:8] offset:23328
.LBB0_14:
	s_or_b32 exec_lo, exec_lo, s4
.LBB0_15:
	s_or_b32 exec_lo, exec_lo, s1
	v_lshlrev_b32_e32 v4, 3, v3
	s_waitcnt lgkmcnt(0)
	s_barrier
	buffer_gl0_inv
	s_add_u32 s1, s12, 0x5af0
	v_add_nc_u32_e32 v0, 0, v4
	v_sub_nc_u32_e32 v12, 0, v4
	s_addc_u32 s4, s13, 0
	s_mov_b32 s5, exec_lo
                                        ; implicit-def: $vgpr9_vgpr10
	ds_read_b32 v11, v0
	ds_read_b32 v13, v12 offset:23328
	s_waitcnt lgkmcnt(0)
	v_add_f32_e32 v7, v13, v11
	v_sub_f32_e32 v8, v11, v13
	v_cmpx_ne_u32_e32 0, v3
	s_xor_b32 s5, exec_lo, s5
	s_cbranch_execz .LBB0_17
; %bb.16:
	v_mov_b32_e32 v4, 0
	v_add_f32_e32 v14, v13, v11
	v_sub_f32_e32 v11, v11, v13
	v_lshlrev_b64 v[7:8], 3, v[3:4]
	v_add_co_u32 v7, s0, s1, v7
	v_add_co_ci_u32_e64 v8, s0, s4, v8, s0
	global_load_dwordx2 v[9:10], v[7:8], off
	ds_read_b32 v7, v12 offset:23332
	ds_read_b32 v8, v0 offset:4
	s_waitcnt lgkmcnt(0)
	v_add_f32_e32 v15, v7, v8
	v_sub_f32_e32 v7, v8, v7
	s_waitcnt vmcnt(0)
	v_fma_f32 v16, v11, v10, v14
	v_fma_f32 v13, -v11, v10, v14
	v_fma_f32 v14, v15, v10, -v7
	v_fma_f32 v8, v15, v10, v7
	v_fma_f32 v7, -v9, v15, v16
	v_fmac_f32_e32 v13, v9, v15
	v_fmac_f32_e32 v14, v11, v9
	;; [unrolled: 1-line block ×3, first 2 shown]
	v_mov_b32_e32 v10, v4
	v_mov_b32_e32 v9, v3
	ds_write_b64 v12, v[13:14] offset:23328
.LBB0_17:
	s_andn2_saveexec_b32 s0, s5
	s_cbranch_execz .LBB0_19
; %bb.18:
	v_mov_b32_e32 v4, 0
	ds_read_b64 v[9:10], v4 offset:11664
	s_waitcnt lgkmcnt(0)
	v_add_f32_e32 v13, v9, v9
	v_mul_f32_e32 v14, -2.0, v10
	v_mov_b32_e32 v9, 0
	v_mov_b32_e32 v10, 0
	ds_write_b64 v4, v[13:14] offset:11664
.LBB0_19:
	s_or_b32 exec_lo, exec_lo, s0
	v_lshlrev_b64 v[9:10], 3, v[9:10]
	ds_write_b64 v0, v[7:8]
	v_mov_b32_e32 v38, 0xaaab
	v_mov_b32_e32 v40, 5
	v_add_co_u32 v9, s0, s1, v9
	v_add_co_ci_u32_e64 v10, s0, s4, v10, s0
	v_add_co_u32 v15, s0, 0x800, v9
	global_load_dwordx2 v[13:14], v[9:10], off offset:1944
	v_add_co_ci_u32_e64 v16, s0, 0, v10, s0
	v_add_co_u32 v17, s0, 0x1000, v9
	v_add_co_ci_u32_e64 v18, s0, 0, v10, s0
	global_load_dwordx2 v[15:16], v[15:16], off offset:1840
	v_add_co_u32 v19, s0, 0x1800, v9
	global_load_dwordx2 v[17:18], v[17:18], off offset:1736
	v_add_co_ci_u32_e64 v20, s0, 0, v10, s0
	v_add_co_u32 v9, s0, 0x2000, v9
	v_add_co_ci_u32_e64 v10, s0, 0, v10, s0
	global_load_dwordx2 v[19:20], v[19:20], off offset:1632
	v_cmp_gt_u32_e64 s0, 0x51, v3
	global_load_dwordx2 v[10:11], v[9:10], off offset:1528
	ds_read_b64 v[7:8], v0 offset:1944
	ds_read_b64 v[21:22], v12 offset:21384
	s_waitcnt lgkmcnt(0)
	v_add_f32_e32 v4, v7, v21
	v_add_f32_e32 v9, v22, v8
	v_sub_f32_e32 v23, v7, v21
	v_sub_f32_e32 v7, v8, v22
	s_waitcnt vmcnt(4)
	v_fma_f32 v24, v23, v14, v4
	v_fma_f32 v8, v9, v14, v7
	v_fma_f32 v21, -v23, v14, v4
	v_fma_f32 v22, v9, v14, -v7
	v_fma_f32 v7, -v13, v9, v24
	v_fmac_f32_e32 v8, v23, v13
	v_fmac_f32_e32 v21, v13, v9
	v_fmac_f32_e32 v22, v23, v13
	ds_write_b64 v0, v[7:8] offset:1944
	ds_write_b64 v12, v[21:22] offset:21384
	ds_read_b64 v[7:8], v0 offset:3888
	ds_read_b64 v[13:14], v12 offset:19440
	s_waitcnt lgkmcnt(0)
	v_add_f32_e32 v4, v7, v13
	v_add_f32_e32 v9, v14, v8
	v_sub_f32_e32 v21, v7, v13
	v_sub_f32_e32 v7, v8, v14
	s_waitcnt vmcnt(3)
	v_fma_f32 v22, v21, v16, v4
	v_fma_f32 v8, v9, v16, v7
	v_fma_f32 v13, -v21, v16, v4
	v_fma_f32 v14, v9, v16, -v7
	v_fma_f32 v7, -v15, v9, v22
	v_fmac_f32_e32 v8, v21, v15
	v_fmac_f32_e32 v13, v15, v9
	v_fmac_f32_e32 v14, v21, v15
	ds_write_b64 v0, v[7:8] offset:3888
	ds_write_b64 v12, v[13:14] offset:19440
	;; [unrolled: 18-line block ×3, first 2 shown]
	ds_read_b64 v[7:8], v0 offset:7776
	ds_read_b64 v[13:14], v12 offset:15552
	s_waitcnt lgkmcnt(0)
	v_add_f32_e32 v4, v7, v13
	v_add_f32_e32 v9, v14, v8
	v_sub_f32_e32 v15, v7, v13
	v_sub_f32_e32 v7, v8, v14
	s_waitcnt vmcnt(1)
	v_fma_f32 v16, v15, v20, v4
	v_fma_f32 v8, v9, v20, v7
	v_fma_f32 v13, -v15, v20, v4
	v_fma_f32 v14, v9, v20, -v7
	v_add_nc_u32_e32 v4, 0xf00, v0
	v_fma_f32 v7, -v19, v9, v16
	v_fmac_f32_e32 v8, v15, v19
	v_fmac_f32_e32 v13, v19, v9
	;; [unrolled: 1-line block ×3, first 2 shown]
	ds_write_b64 v0, v[7:8] offset:7776
	ds_write_b64 v12, v[13:14] offset:15552
	ds_read_b64 v[7:8], v0 offset:9720
	ds_read_b64 v[13:14], v12 offset:13608
	v_add_nc_u32_e32 v9, 0x1e00, v0
	s_waitcnt lgkmcnt(0)
	v_add_f32_e32 v16, v7, v13
	v_add_f32_e32 v18, v14, v8
	v_sub_f32_e32 v19, v7, v13
	v_sub_f32_e32 v7, v8, v14
	v_add_nc_u32_e32 v13, 0xf3, v3
	s_waitcnt vmcnt(0)
	v_fma_f32 v8, v19, v11, v16
	v_fma_f32 v15, v18, v11, v7
	v_fma_f32 v16, -v19, v11, v16
	v_fma_f32 v17, v18, v11, -v7
	v_add_nc_u32_e32 v11, 0x3c80, v0
	v_fma_f32 v14, -v10, v18, v8
	v_fmac_f32_e32 v15, v19, v10
	v_fmac_f32_e32 v16, v10, v18
	;; [unrolled: 1-line block ×3, first 2 shown]
	v_add_nc_u32_e32 v10, 0x2d80, v0
	ds_write_b64 v0, v[14:15] offset:9720
	ds_write_b64 v12, v[16:17] offset:13608
	v_add_nc_u32_e32 v12, 0x4bc0, v0
	v_and_b32_e32 v7, 0xff, v3
	s_waitcnt lgkmcnt(0)
	s_barrier
	buffer_gl0_inv
	s_barrier
	buffer_gl0_inv
	ds_read2_b64 v[14:17], v0 offset1:243
	ds_read2_b64 v[18:21], v9 offset0:12 offset1:255
	ds_read2_b64 v[22:25], v11 offset0:8 offset1:251
	;; [unrolled: 1-line block ×5, first 2 shown]
	v_mul_lo_u16 v8, 0xab, v7
	v_mul_u32_u24_sdwa v38, v13, v38 dst_sel:DWORD dst_unused:UNUSED_PAD src0_sel:WORD_0 src1_sel:DWORD
	s_waitcnt lgkmcnt(0)
	s_barrier
	buffer_gl0_inv
	v_lshrrev_b16 v8, 10, v8
	v_lshrrev_b32_e32 v50, 18, v38
	v_mad_u32_u24 v38, v3, 40, v0
	v_mul_lo_u16 v39, v8, 6
	v_add_nc_u32_e32 v60, 0x2d90, v38
	v_add_nc_u32_e32 v61, 0x2da0, v38
	;; [unrolled: 1-line block ×3, first 2 shown]
	v_sub_nc_u16 v51, v3, v39
	v_mul_lo_u16 v39, v50, 6
	v_add_f32_e32 v42, v14, v18
	v_add_f32_e32 v49, v27, v31
	;; [unrolled: 1-line block ×3, first 2 shown]
	v_sub_f32_e32 v48, v31, v35
	v_add_f32_e32 v31, v31, v35
	v_sub_f32_e32 v44, v19, v23
	v_add_f32_e32 v45, v15, v19
	v_add_f32_e32 v19, v19, v23
	;; [unrolled: 1-line block ×4, first 2 shown]
	v_sub_f32_e32 v58, v33, v37
	v_add_f32_e32 v59, v29, v33
	v_add_f32_e32 v33, v33, v37
	v_mul_u32_u24_sdwa v41, v51, v40 dst_sel:DWORD dst_unused:UNUSED_PAD src0_sel:BYTE_0 src1_sel:DWORD
	v_add_f32_e32 v43, v18, v22
	v_sub_f32_e32 v30, v30, v34
	v_add_f32_e32 v52, v16, v20
	v_sub_f32_e32 v54, v21, v25
	v_add_f32_e32 v55, v17, v21
	v_add_f32_e32 v21, v21, v25
	;; [unrolled: 1-line block ×3, first 2 shown]
	v_fma_f32 v26, -0.5, v47, v26
	v_fma_f32 v27, -0.5, v31, v27
	v_sub_f32_e32 v18, v18, v22
	v_sub_f32_e32 v32, v32, v36
	v_add_f32_e32 v22, v42, v22
	v_add_f32_e32 v23, v45, v23
	v_fma_f32 v42, -0.5, v19, v15
	v_add_f32_e32 v19, v46, v34
	v_add_f32_e32 v34, v49, v35
	v_fma_f32 v28, -0.5, v57, v28
	v_fmac_f32_e32 v29, -0.5, v33
	v_add_f32_e32 v53, v20, v24
	v_sub_f32_e32 v20, v20, v24
	v_sub_nc_u16 v63, v13, v39
	v_lshlrev_b32_e32 v39, 3, v41
	v_fma_f32 v41, -0.5, v43, v14
	v_add_f32_e32 v24, v52, v24
	v_add_f32_e32 v25, v55, v25
	v_fmac_f32_e32 v17, -0.5, v21
	v_add_f32_e32 v31, v56, v36
	v_add_f32_e32 v35, v59, v37
	v_fmamk_f32 v37, v48, 0x3f5db3d7, v26
	v_fmamk_f32 v43, v30, 0xbf5db3d7, v27
	v_fmac_f32_e32 v26, 0xbf5db3d7, v48
	v_fmac_f32_e32 v27, 0x3f5db3d7, v30
	v_fmamk_f32 v36, v18, 0xbf5db3d7, v42
	v_fmac_f32_e32 v42, 0x3f5db3d7, v18
	v_add_f32_e32 v14, v22, v19
	v_add_f32_e32 v15, v23, v34
	v_sub_f32_e32 v18, v22, v19
	v_sub_f32_e32 v19, v23, v34
	v_fmamk_f32 v30, v58, 0x3f5db3d7, v28
	v_fmamk_f32 v34, v32, 0xbf5db3d7, v29
	v_fmac_f32_e32 v28, 0xbf5db3d7, v58
	v_fmac_f32_e32 v29, 0x3f5db3d7, v32
	v_fmamk_f32 v45, v20, 0xbf5db3d7, v17
	v_fmac_f32_e32 v17, 0x3f5db3d7, v20
	v_add_f32_e32 v20, v24, v31
	v_add_f32_e32 v21, v25, v35
	v_sub_f32_e32 v22, v24, v31
	v_sub_f32_e32 v23, v25, v35
	v_mul_f32_e32 v31, 0x3f5db3d7, v43
	v_mul_f32_e32 v35, 0xbf5db3d7, v37
	v_mul_f32_e32 v32, -0.5, v26
	v_mul_f32_e32 v46, -0.5, v27
	v_fma_f32 v16, -0.5, v53, v16
	v_mul_f32_e32 v47, 0x3f5db3d7, v34
	v_mul_f32_e32 v49, 0xbf5db3d7, v30
	v_mul_f32_e32 v48, -0.5, v28
	v_mul_f32_e32 v52, -0.5, v29
	v_fmamk_f32 v33, v44, 0x3f5db3d7, v41
	v_fmac_f32_e32 v31, 0.5, v37
	v_fmac_f32_e32 v35, 0.5, v43
	v_fmac_f32_e32 v41, 0xbf5db3d7, v44
	v_fmac_f32_e32 v32, 0x3f5db3d7, v27
	v_fmac_f32_e32 v46, 0xbf5db3d7, v26
	v_fmamk_f32 v44, v54, 0x3f5db3d7, v16
	v_fmac_f32_e32 v47, 0.5, v30
	v_fmac_f32_e32 v49, 0.5, v34
	v_fmac_f32_e32 v16, 0xbf5db3d7, v54
	v_fmac_f32_e32 v48, 0x3f5db3d7, v29
	;; [unrolled: 1-line block ×3, first 2 shown]
	v_add_f32_e32 v24, v33, v31
	v_add_f32_e32 v25, v36, v35
	;; [unrolled: 1-line block ×4, first 2 shown]
	v_sub_f32_e32 v28, v33, v31
	v_sub_f32_e32 v30, v41, v32
	;; [unrolled: 1-line block ×4, first 2 shown]
	v_add_f32_e32 v32, v44, v47
	v_add_f32_e32 v33, v45, v49
	v_add_f32_e32 v34, v16, v48
	v_add_f32_e32 v35, v17, v52
	v_sub_f32_e32 v36, v44, v47
	v_sub_f32_e32 v16, v16, v48
	;; [unrolled: 1-line block ×4, first 2 shown]
	ds_write2_b64 v38, v[14:15], v[24:25] offset1:1
	ds_write2_b64 v38, v[26:27], v[18:19] offset0:2 offset1:3
	ds_write2_b64 v38, v[28:29], v[30:31] offset0:4 offset1:5
	ds_write2_b64 v60, v[20:21], v[32:33] offset1:1
	ds_write2_b64 v61, v[34:35], v[22:23] offset1:1
	ds_write2_b64 v62, v[36:37], v[16:17] offset1:1
	s_waitcnt lgkmcnt(0)
	s_barrier
	buffer_gl0_inv
	global_load_dwordx4 v[18:21], v39, s[12:13]
	v_mul_u32_u24_sdwa v14, v63, v40 dst_sel:DWORD dst_unused:UNUSED_PAD src0_sel:WORD_0 src1_sel:DWORD
	v_mov_b32_e32 v53, 0x120
	v_mul_lo_u16 v54, v7, 57
	v_add_nc_u32_e32 v15, 0x1e6, v3
	v_mov_b32_e32 v52, 0xe38f
	v_lshlrev_b32_e32 v14, 3, v14
	s_clause 0x4
	global_load_dwordx4 v[22:25], v14, s[12:13]
	global_load_dwordx4 v[26:29], v39, s[12:13] offset:16
	global_load_dwordx4 v[30:33], v14, s[12:13] offset:16
	global_load_dwordx2 v[46:47], v39, s[12:13] offset:32
	global_load_dwordx2 v[48:49], v14, s[12:13] offset:32
	ds_read2_b64 v[34:37], v4 offset0:6 offset1:249
	ds_read2_b64 v[38:41], v9 offset0:12 offset1:255
	;; [unrolled: 1-line block ×3, first 2 shown]
	v_mul_u32_u24_sdwa v8, v8, v53 dst_sel:DWORD dst_unused:UNUSED_PAD src0_sel:WORD_0 src1_sel:DWORD
	v_lshrrev_b16 v54, 11, v54
	v_mul_u32_u24_sdwa v55, v13, v52 dst_sel:DWORD dst_unused:UNUSED_PAD src0_sel:WORD_0 src1_sel:DWORD
	v_mov_b32_e32 v16, 3
	v_add_nc_u32_e32 v14, 0x2d9, v3
	v_mov_b32_e32 v17, 4
	v_mul_lo_u16 v7, v7, 19
	v_lshrrev_b32_e32 v55, 21, v55
	s_waitcnt vmcnt(5) lgkmcnt(2)
	v_mul_f32_e32 v56, v19, v35
	v_mul_f32_e32 v57, v19, v34
	s_waitcnt lgkmcnt(1)
	v_mul_f32_e32 v19, v21, v39
	v_mul_f32_e32 v58, v21, v38
	v_fma_f32 v34, v18, v34, -v56
	v_fmac_f32_e32 v57, v18, v35
	v_fma_f32 v35, v20, v38, -v19
	v_fmac_f32_e32 v58, v20, v39
	ds_read2_b64 v[18:21], v11 offset0:8 offset1:251
	s_waitcnt vmcnt(4)
	v_mul_f32_e32 v39, v37, v23
	v_mul_f32_e32 v53, v36, v23
	v_mul_u32_u24_sdwa v38, v15, v52 dst_sel:DWORD dst_unused:UNUSED_PAD src0_sel:WORD_0 src1_sel:DWORD
	v_mul_f32_e32 v23, v41, v25
	s_waitcnt vmcnt(3) lgkmcnt(1)
	v_mul_f32_e32 v59, v27, v42
	v_fma_f32 v36, v36, v22, -v39
	v_fmac_f32_e32 v53, v37, v22
	v_mul_lo_u16 v22, v54, 36
	v_mul_f32_e32 v37, v40, v25
	v_lshrrev_b32_e32 v56, 21, v38
	v_mul_u32_u24_e32 v38, 0x120, v50
	v_fma_f32 v40, v40, v24, -v23
	v_sub_nc_u16 v50, v3, v22
	v_fmac_f32_e32 v37, v41, v24
	ds_read2_b64 v[22:25], v12 offset0:6 offset1:249
	v_mul_f32_e32 v41, v27, v43
	v_fmac_f32_e32 v59, v26, v43
	v_lshlrev_b32_sdwa v43, v16, v63 dst_sel:DWORD dst_unused:UNUSED_PAD src0_sel:DWORD src1_sel:WORD_0
	v_mul_lo_u16 v39, v55, 36
	s_waitcnt lgkmcnt(1)
	v_mul_f32_e32 v27, v29, v19
	v_mul_f32_e32 v60, v29, v18
	v_fma_f32 v41, v26, v42, -v41
	v_add3_u32 v43, 0, v38, v43
	v_sub_nc_u16 v42, v13, v39
	v_fma_f32 v18, v28, v18, -v27
	v_fmac_f32_e32 v60, v28, v19
	s_waitcnt vmcnt(2)
	v_mul_f32_e32 v19, v45, v31
	v_mul_f32_e32 v31, v44, v31
	ds_read2_b64 v[26:29], v0 offset1:243
	v_lshlrev_b32_sdwa v39, v16, v51 dst_sel:DWORD dst_unused:UNUSED_PAD src0_sel:DWORD src1_sel:BYTE_0
	s_waitcnt vmcnt(0) lgkmcnt(0)
	v_fma_f32 v19, v44, v30, -v19
	v_fmac_f32_e32 v31, v45, v30
	v_mul_f32_e32 v30, v21, v33
	v_mul_f32_e32 v33, v20, v33
	;; [unrolled: 1-line block ×3, first 2 shown]
	v_add3_u32 v8, 0, v8, v39
	v_add_f32_e32 v39, v58, v60
	v_fma_f32 v20, v20, v32, -v30
	v_fmac_f32_e32 v33, v21, v32
	v_mul_f32_e32 v21, v47, v23
	v_mul_f32_e32 v30, v47, v22
	;; [unrolled: 1-line block ×3, first 2 shown]
	v_fmac_f32_e32 v38, v25, v48
	v_sub_f32_e32 v25, v58, v60
	v_fma_f32 v21, v46, v22, -v21
	v_fmac_f32_e32 v30, v46, v23
	v_fma_f32 v22, v24, v48, -v32
	v_add_f32_e32 v32, v27, v58
	v_add_f32_e32 v46, v34, v41
	v_add_f32_e32 v47, v41, v21
	v_add_f32_e32 v51, v59, v30
	v_add_f32_e32 v23, v26, v35
	v_add_f32_e32 v24, v35, v18
	v_add_f32_e32 v49, v57, v59
	v_sub_f32_e32 v41, v41, v21
	v_sub_f32_e32 v61, v37, v33
	v_add_f32_e32 v62, v29, v37
	v_add_f32_e32 v37, v37, v33
	;; [unrolled: 1-line block ×5, first 2 shown]
	v_sub_f32_e32 v46, v31, v38
	v_fmac_f32_e32 v34, -0.5, v47
	v_add_f32_e32 v47, v53, v31
	v_add_f32_e32 v31, v31, v38
	v_sub_f32_e32 v35, v35, v18
	v_sub_f32_e32 v48, v59, v30
	v_fma_f32 v39, -0.5, v39, v27
	v_fmac_f32_e32 v57, -0.5, v51
	v_add_f32_e32 v58, v28, v40
	v_add_f32_e32 v59, v40, v20
	v_sub_f32_e32 v40, v40, v20
	v_add_f32_e32 v23, v23, v18
	v_add_f32_e32 v18, v36, v19
	v_sub_f32_e32 v63, v19, v22
	v_fma_f32 v64, -0.5, v24, v26
	v_add_f32_e32 v24, v49, v30
	v_fmac_f32_e32 v29, -0.5, v37
	v_fmac_f32_e32 v36, -0.5, v60
	;; [unrolled: 1-line block ×3, first 2 shown]
	v_add_f32_e32 v27, v62, v33
	v_add_f32_e32 v33, v47, v38
	v_fmamk_f32 v38, v35, 0xbf5db3d7, v39
	v_fmac_f32_e32 v39, 0x3f5db3d7, v35
	v_fmamk_f32 v31, v48, 0x3f5db3d7, v34
	v_fmamk_f32 v35, v41, 0xbf5db3d7, v57
	v_fmac_f32_e32 v34, 0xbf5db3d7, v48
	v_fmac_f32_e32 v57, 0x3f5db3d7, v41
	v_add_f32_e32 v26, v58, v20
	v_add_f32_e32 v30, v18, v22
	v_add_f32_e32 v18, v23, v21
	v_add_f32_e32 v19, v32, v24
	v_sub_f32_e32 v20, v23, v21
	v_sub_f32_e32 v21, v32, v24
	v_fmamk_f32 v47, v40, 0xbf5db3d7, v29
	v_fmac_f32_e32 v29, 0x3f5db3d7, v40
	v_fmamk_f32 v32, v46, 0x3f5db3d7, v36
	v_fmamk_f32 v40, v63, 0xbf5db3d7, v53
	v_fmac_f32_e32 v36, 0xbf5db3d7, v46
	v_fmac_f32_e32 v53, 0x3f5db3d7, v63
	v_fmamk_f32 v37, v25, 0x3f5db3d7, v64
	v_fmac_f32_e32 v64, 0xbf5db3d7, v25
	v_add_f32_e32 v23, v27, v33
	v_sub_f32_e32 v25, v27, v33
	v_mul_f32_e32 v33, 0x3f5db3d7, v35
	v_mul_f32_e32 v48, 0xbf5db3d7, v31
	v_mul_f32_e32 v46, -0.5, v34
	v_mul_f32_e32 v49, -0.5, v57
	v_fma_f32 v28, -0.5, v59, v28
	v_mul_f32_e32 v51, 0x3f5db3d7, v40
	v_mul_f32_e32 v59, 0xbf5db3d7, v32
	v_mul_f32_e32 v58, -0.5, v36
	v_mul_f32_e32 v60, -0.5, v53
	v_fmac_f32_e32 v33, 0.5, v31
	v_fmac_f32_e32 v48, 0.5, v35
	v_fmac_f32_e32 v46, 0x3f5db3d7, v57
	v_fmac_f32_e32 v49, 0xbf5db3d7, v34
	v_fmamk_f32 v41, v61, 0x3f5db3d7, v28
	v_fmac_f32_e32 v51, 0.5, v32
	v_fmac_f32_e32 v59, 0.5, v40
	v_fmac_f32_e32 v28, 0xbf5db3d7, v61
	v_fmac_f32_e32 v58, 0x3f5db3d7, v53
	;; [unrolled: 1-line block ×3, first 2 shown]
	v_add_f32_e32 v22, v26, v30
	v_sub_f32_e32 v24, v26, v30
	v_add_f32_e32 v26, v37, v33
	v_add_f32_e32 v27, v38, v48
	;; [unrolled: 1-line block ×4, first 2 shown]
	v_sub_f32_e32 v32, v37, v33
	v_sub_f32_e32 v34, v64, v46
	;; [unrolled: 1-line block ×4, first 2 shown]
	v_add_f32_e32 v36, v41, v51
	v_add_f32_e32 v37, v47, v59
	;; [unrolled: 1-line block ×4, first 2 shown]
	v_lshlrev_b32_sdwa v44, v17, v50 dst_sel:DWORD dst_unused:UNUSED_PAD src0_sel:DWORD src1_sel:BYTE_0
	v_lshlrev_b32_sdwa v45, v17, v42 dst_sel:DWORD dst_unused:UNUSED_PAD src0_sel:DWORD src1_sel:WORD_0
	s_barrier
	buffer_gl0_inv
	v_sub_f32_e32 v40, v41, v51
	v_sub_f32_e32 v28, v28, v58
	;; [unrolled: 1-line block ×4, first 2 shown]
	ds_write2_b64 v8, v[18:19], v[26:27] offset1:6
	ds_write2_b64 v8, v[30:31], v[20:21] offset0:12 offset1:18
	ds_write2_b64 v8, v[32:33], v[34:35] offset0:24 offset1:30
	ds_write2_b64 v43, v[22:23], v[36:37] offset1:6
	ds_write2_b64 v43, v[38:39], v[24:25] offset0:12 offset1:18
	ds_write2_b64 v43, v[40:41], v[28:29] offset0:24 offset1:30
	v_mul_u32_u24_sdwa v8, v14, v52 dst_sel:DWORD dst_unused:UNUSED_PAD src0_sel:WORD_0 src1_sel:DWORD
	s_waitcnt lgkmcnt(0)
	s_barrier
	buffer_gl0_inv
	s_clause 0x1
	global_load_dwordx4 v[18:21], v44, s[12:13] offset:240
	global_load_dwordx4 v[22:25], v45, s[12:13] offset:240
	v_mul_lo_u16 v26, v56, 36
	v_lshrrev_b32_e32 v8, 21, v8
	v_mov_b32_e32 v51, 0x4bdb
	v_lshrrev_b16 v34, 2, v13
	v_mov_b32_e32 v35, 0x360
	v_sub_nc_u16 v43, v15, v26
	v_mul_lo_u16 v26, v8, 36
	v_lshrrev_b16 v52, 11, v7
	v_mul_u32_u24_sdwa v7, v34, v51 dst_sel:DWORD dst_unused:UNUSED_PAD src0_sel:WORD_0 src1_sel:DWORD
	v_mul_u32_u24_sdwa v45, v54, v35 dst_sel:DWORD dst_unused:UNUSED_PAD src0_sel:WORD_0 src1_sel:DWORD
	v_lshlrev_b32_sdwa v27, v17, v43 dst_sel:DWORD dst_unused:UNUSED_PAD src0_sel:DWORD src1_sel:WORD_0
	v_sub_nc_u16 v44, v14, v26
	ds_read2_b64 v[34:37], v9 offset0:12 offset1:255
	ds_read2_b64 v[38:41], v11 offset0:8 offset1:251
	v_mul_lo_u16 v46, 0x6c, v52
	global_load_dwordx4 v[26:29], v27, s[12:13] offset:240
	v_lshlrev_b32_sdwa v30, v17, v44 dst_sel:DWORD dst_unused:UNUSED_PAD src0_sel:DWORD src1_sel:WORD_0
	v_lshrrev_b32_e32 v53, 19, v7
	v_mul_u32_u24_e32 v7, 0x360, v55
	v_mul_u32_u24_e32 v47, 0x360, v56
	;; [unrolled: 1-line block ×3, first 2 shown]
	global_load_dwordx4 v[30:33], v30, s[12:13] offset:240
	v_sub_nc_u16 v54, v3, v46
	v_mul_lo_u16 v46, 0x6c, v53
	v_lshlrev_b32_sdwa v48, v16, v50 dst_sel:DWORD dst_unused:UNUSED_PAD src0_sel:DWORD src1_sel:BYTE_0
	v_lshlrev_b32_sdwa v42, v16, v42 dst_sel:DWORD dst_unused:UNUSED_PAD src0_sel:DWORD src1_sel:WORD_0
	v_lshlrev_b32_sdwa v43, v16, v43 dst_sel:DWORD dst_unused:UNUSED_PAD src0_sel:DWORD src1_sel:WORD_0
	;; [unrolled: 1-line block ×3, first 2 shown]
	v_sub_nc_u16 v55, v13, v46
	v_add3_u32 v56, 0, v45, v48
	v_add3_u32 v57, 0, v7, v42
	;; [unrolled: 1-line block ×4, first 2 shown]
	ds_read2_b64 v[42:45], v10 offset0:2 offset1:245
	ds_read2_b64 v[46:49], v12 offset0:6 offset1:249
	v_lshlrev_b32_sdwa v50, v17, v54 dst_sel:DWORD dst_unused:UNUSED_PAD src0_sel:DWORD src1_sel:BYTE_0
	v_lshlrev_b32_sdwa v61, v17, v55 dst_sel:DWORD dst_unused:UNUSED_PAD src0_sel:DWORD src1_sel:WORD_0
	s_waitcnt vmcnt(3) lgkmcnt(3)
	v_mul_f32_e32 v7, v19, v35
	v_mul_f32_e32 v8, v19, v34
	s_waitcnt lgkmcnt(2)
	v_mul_f32_e32 v19, v21, v39
	v_mul_f32_e32 v60, v21, v38
	s_waitcnt vmcnt(2)
	v_mul_f32_e32 v21, v23, v37
	v_fma_f32 v7, v18, v34, -v7
	v_fmac_f32_e32 v8, v18, v35
	v_fma_f32 v34, v20, v38, -v19
	v_fmac_f32_e32 v60, v20, v39
	v_mul_f32_e32 v35, v23, v36
	v_mul_f32_e32 v23, v25, v41
	;; [unrolled: 1-line block ×3, first 2 shown]
	v_fma_f32 v36, v22, v36, -v21
	ds_read2_b64 v[18:21], v0 offset1:243
	v_fmac_f32_e32 v35, v22, v37
	v_fma_f32 v37, v24, v40, -v23
	v_fmac_f32_e32 v38, v24, v41
	ds_read2_b64 v[22:25], v4 offset0:6 offset1:249
	s_waitcnt vmcnt(1) lgkmcnt(3)
	v_mul_f32_e32 v39, v27, v43
	v_mul_f32_e32 v27, v27, v42
	s_waitcnt lgkmcnt(2)
	v_mul_f32_e32 v40, v47, v29
	v_mul_f32_e32 v29, v46, v29
	s_waitcnt vmcnt(0) lgkmcnt(0)
	v_fma_f32 v39, v26, v42, -v39
	v_fmac_f32_e32 v27, v26, v43
	v_fma_f32 v40, v46, v28, -v40
	v_fmac_f32_e32 v29, v47, v28
	v_mul_f32_e32 v26, v45, v31
	v_mul_f32_e32 v28, v44, v31
	;; [unrolled: 1-line block ×4, first 2 shown]
	v_add_f32_e32 v43, v8, v60
	v_fma_f32 v41, v44, v30, -v26
	v_fmac_f32_e32 v28, v45, v30
	v_fma_f32 v30, v48, v32, -v31
	v_fmac_f32_e32 v33, v49, v32
	v_add_f32_e32 v26, v18, v7
	v_add_f32_e32 v31, v7, v34
	;; [unrolled: 1-line block ×5, first 2 shown]
	v_sub_f32_e32 v47, v35, v38
	v_add_f32_e32 v48, v21, v35
	v_add_f32_e32 v35, v35, v38
	;; [unrolled: 1-line block ×4, first 2 shown]
	v_sub_f32_e32 v42, v8, v60
	v_sub_f32_e32 v44, v7, v34
	;; [unrolled: 1-line block ×3, first 2 shown]
	v_add_f32_e32 v7, v26, v34
	v_add_f32_e32 v8, v32, v60
	;; [unrolled: 1-line block ×5, first 2 shown]
	v_fma_f32 v18, -0.5, v31, v18
	v_fma_f32 v19, -0.5, v43, v19
	v_add_f32_e32 v31, v25, v28
	v_add_f32_e32 v37, v28, v33
	v_fma_f32 v20, -0.5, v46, v20
	v_fmac_f32_e32 v21, -0.5, v35
	v_add_f32_e32 v49, v22, v39
	v_sub_f32_e32 v63, v27, v29
	v_add_f32_e32 v64, v23, v27
	v_sub_f32_e32 v39, v39, v40
	v_fma_f32 v22, -0.5, v62, v22
	v_fma_f32 v23, -0.5, v65, v23
	v_sub_f32_e32 v45, v28, v33
	v_sub_f32_e32 v41, v41, v30
	v_add_f32_e32 v30, v32, v30
	v_fma_f32 v24, -0.5, v34, v24
	v_add_f32_e32 v31, v31, v33
	v_fmac_f32_e32 v25, -0.5, v37
	v_fmamk_f32 v32, v42, 0x3f5db3d7, v18
	v_fmamk_f32 v33, v44, 0xbf5db3d7, v19
	v_fmac_f32_e32 v18, 0xbf5db3d7, v42
	v_fmac_f32_e32 v19, 0x3f5db3d7, v44
	v_add_f32_e32 v27, v48, v38
	v_fmamk_f32 v34, v47, 0x3f5db3d7, v20
	v_fmamk_f32 v35, v36, 0xbf5db3d7, v21
	v_fmac_f32_e32 v20, 0xbf5db3d7, v47
	v_fmac_f32_e32 v21, 0x3f5db3d7, v36
	v_add_f32_e32 v28, v49, v40
	v_add_f32_e32 v29, v64, v29
	v_fmamk_f32 v36, v63, 0x3f5db3d7, v22
	v_fmamk_f32 v37, v39, 0xbf5db3d7, v23
	s_barrier
	buffer_gl0_inv
	v_fmac_f32_e32 v22, 0xbf5db3d7, v63
	v_fmac_f32_e32 v23, 0x3f5db3d7, v39
	v_fmamk_f32 v38, v45, 0x3f5db3d7, v24
	v_fmac_f32_e32 v24, 0xbf5db3d7, v45
	v_fmamk_f32 v39, v41, 0xbf5db3d7, v25
	v_fmac_f32_e32 v25, 0x3f5db3d7, v41
	ds_write2_b64 v56, v[7:8], v[32:33] offset1:36
	ds_write_b64 v56, v[18:19] offset:576
	ds_write2_b64 v57, v[26:27], v[34:35] offset1:36
	ds_write_b64 v57, v[20:21] offset:576
	;; [unrolled: 2-line block ×4, first 2 shown]
	v_lshrrev_b16 v7, 2, v15
	s_waitcnt lgkmcnt(0)
	s_barrier
	buffer_gl0_inv
	s_clause 0x1
	global_load_dwordx4 v[18:21], v50, s[12:13] offset:816
	global_load_dwordx4 v[22:25], v61, s[12:13] offset:816
	v_mul_u32_u24_sdwa v7, v7, v51 dst_sel:DWORD dst_unused:UNUSED_PAD src0_sel:WORD_0 src1_sel:DWORD
	v_add_nc_u32_e32 v49, 0xffffffaf, v3
	v_mov_b32_e32 v50, 0x6523
	v_mov_b32_e32 v48, 0xa20
	v_lshrrev_b32_e32 v44, 19, v7
	v_cndmask_b32_e64 v49, v49, v13, s0
	v_mul_lo_u16 v7, 0x6c, v44
	v_sub_nc_u16 v45, v15, v7
	v_lshrrev_b16 v7, 2, v14
	v_lshlrev_b32_sdwa v8, v17, v45 dst_sel:DWORD dst_unused:UNUSED_PAD src0_sel:DWORD src1_sel:WORD_0
	v_mul_u32_u24_sdwa v7, v7, v51 dst_sel:DWORD dst_unused:UNUSED_PAD src0_sel:WORD_0 src1_sel:DWORD
	global_load_dwordx4 v[26:29], v8, s[12:13] offset:816
	v_lshrrev_b32_e32 v46, 19, v7
	v_mul_lo_u16 v7, 0x6c, v46
	v_sub_nc_u16 v47, v14, v7
	v_lshlrev_b32_sdwa v7, v17, v47 dst_sel:DWORD dst_unused:UNUSED_PAD src0_sel:DWORD src1_sel:WORD_0
	global_load_dwordx4 v[30:33], v7, s[12:13] offset:816
	ds_read2_b64 v[34:37], v9 offset0:12 offset1:255
	ds_read2_b64 v[38:41], v11 offset0:8 offset1:251
	v_lshlrev_b32_e32 v7, 1, v3
	v_mov_b32_e32 v8, 0
	v_lshlrev_b64 v[42:43], 3, v[7:8]
	s_waitcnt vmcnt(3) lgkmcnt(1)
	v_mul_f32_e32 v7, v19, v35
	v_mul_f32_e32 v51, v19, v34
	s_waitcnt lgkmcnt(0)
	v_mul_f32_e32 v19, v21, v39
	v_mul_f32_e32 v56, v21, v38
	s_waitcnt vmcnt(2)
	v_mul_f32_e32 v57, v23, v37
	v_mul_f32_e32 v58, v23, v36
	v_fma_f32 v59, v18, v34, -v7
	v_fmac_f32_e32 v51, v18, v35
	v_fma_f32 v38, v20, v38, -v19
	v_fmac_f32_e32 v56, v20, v39
	ds_read2_b64 v[18:21], v10 offset0:2 offset1:245
	v_fma_f32 v39, v22, v36, -v57
	v_fmac_f32_e32 v58, v22, v37
	ds_read2_b64 v[34:37], v12 offset0:6 offset1:249
	v_mul_u32_u24_sdwa v22, v15, v50 dst_sel:DWORD dst_unused:UNUSED_PAD src0_sel:WORD_0 src1_sel:DWORD
	v_mul_u32_u24_sdwa v23, v14, v50 dst_sel:DWORD dst_unused:UNUSED_PAD src0_sel:WORD_0 src1_sel:DWORD
	v_add_co_u32 v50, s0, s12, v42
	v_add_co_ci_u32_e64 v57, s0, s13, v43, s0
	v_mul_u32_u24_sdwa v42, v52, v48 dst_sel:DWORD dst_unused:UNUSED_PAD src0_sel:WORD_0 src1_sel:DWORD
	v_mul_f32_e32 v43, v25, v41
	v_mul_f32_e32 v48, v25, v40
	v_lshlrev_b32_e32 v7, 1, v49
	v_lshrrev_b32_e32 v52, 23, v22
	v_lshrrev_b32_e32 v25, 23, v23
	v_fma_f32 v40, v24, v40, -v43
	v_fmac_f32_e32 v48, v24, v41
	v_lshlrev_b64 v[22:23], 3, v[7:8]
	v_mul_lo_u16 v7, 0x144, v52
	s_waitcnt vmcnt(1) lgkmcnt(1)
	v_mul_f32_e32 v24, v27, v19
	v_mul_f32_e32 v41, v27, v18
	s_waitcnt lgkmcnt(0)
	v_mul_f32_e32 v27, v35, v29
	v_mul_f32_e32 v43, v34, v29
	v_mul_lo_u16 v29, 0x144, v25
	v_fma_f32 v60, v26, v18, -v24
	v_add_co_u32 v25, s0, 0x800, v50
	v_fma_f32 v61, v34, v28, -v27
	v_mul_u32_u24_e32 v34, 0xa20, v53
	v_sub_nc_u16 v53, v15, v7
	v_sub_nc_u16 v7, v14, v29
	v_fmac_f32_e32 v43, v35, v28
	v_mul_u32_u24_e32 v35, 0xa20, v44
	v_mul_u32_u24_e32 v44, 0xa20, v46
	v_fmac_f32_e32 v41, v26, v19
	v_lshlrev_b32_sdwa v24, v16, v54 dst_sel:DWORD dst_unused:UNUSED_PAD src0_sel:DWORD src1_sel:BYTE_0
	s_waitcnt vmcnt(0)
	v_mul_f32_e32 v18, v21, v31
	v_mul_f32_e32 v46, v20, v31
	v_lshlrev_b32_sdwa v54, v17, v53 dst_sel:DWORD dst_unused:UNUSED_PAD src0_sel:DWORD src1_sel:WORD_0
	v_and_b32_e32 v62, 0xffff, v7
	v_add_co_ci_u32_e64 v26, s0, 0, v57, s0
	v_fma_f32 v7, v20, v30, -v18
	ds_read2_b64 v[17:20], v0 offset1:243
	v_add_co_u32 v22, s0, s12, v22
	v_add_co_ci_u32_e64 v23, s0, s13, v23, s0
	v_fmac_f32_e32 v46, v21, v30
	v_mul_f32_e32 v21, v37, v33
	v_add_co_u32 v27, s0, 0x800, v22
	v_add_co_ci_u32_e64 v28, s0, 0, v23, s0
	v_add3_u32 v63, 0, v42, v24
	v_mul_f32_e32 v42, v36, v33
	v_fma_f32 v36, v36, v32, -v21
	ds_read2_b64 v[21:24], v4 offset0:6 offset1:249
	v_lshlrev_b32_sdwa v29, v16, v55 dst_sel:DWORD dst_unused:UNUSED_PAD src0_sel:DWORD src1_sel:WORD_0
	v_lshlrev_b32_sdwa v30, v16, v45 dst_sel:DWORD dst_unused:UNUSED_PAD src0_sel:DWORD src1_sel:WORD_0
	v_lshlrev_b32_sdwa v31, v16, v47 dst_sel:DWORD dst_unused:UNUSED_PAD src0_sel:DWORD src1_sel:WORD_0
	v_fmac_f32_e32 v42, v37, v32
	v_add_f32_e32 v37, v51, v56
	v_add3_u32 v45, 0, v34, v29
	s_waitcnt lgkmcnt(1)
	v_add_f32_e32 v29, v17, v59
	v_add3_u32 v47, 0, v35, v30
	v_add3_u32 v55, 0, v44, v31
	v_add_f32_e32 v35, v59, v38
	v_add_f32_e32 v30, v18, v51
	;; [unrolled: 1-line block ×3, first 2 shown]
	v_fma_f32 v18, -0.5, v37, v18
	v_add_f32_e32 v37, v7, v36
	v_sub_f32_e32 v44, v51, v56
	v_sub_f32_e32 v51, v59, v38
	v_add_f32_e32 v29, v29, v38
	v_add_f32_e32 v38, v58, v48
	;; [unrolled: 1-line block ×5, first 2 shown]
	v_sub_f32_e32 v56, v58, v48
	s_waitcnt lgkmcnt(0)
	v_add_f32_e32 v33, v22, v41
	v_add_f32_e32 v31, v31, v40
	v_sub_f32_e32 v58, v39, v40
	v_add_f32_e32 v39, v41, v43
	v_add_f32_e32 v40, v60, v61
	v_fma_f32 v17, -0.5, v35, v17
	v_add_f32_e32 v35, v23, v7
	v_fma_f32 v23, -0.5, v37, v23
	v_add_f32_e32 v37, v46, v42
	v_fmac_f32_e32 v20, -0.5, v38
	v_add_f32_e32 v38, v24, v46
	v_fma_f32 v19, -0.5, v59, v19
	v_add_f32_e32 v32, v32, v48
	v_add_f32_e32 v48, v21, v60
	v_sub_f32_e32 v64, v41, v43
	v_add_f32_e32 v34, v33, v43
	v_sub_f32_e32 v43, v60, v61
	v_fma_f32 v21, -0.5, v40, v21
	v_fma_f32 v22, -0.5, v39, v22
	v_sub_f32_e32 v46, v46, v42
	v_sub_f32_e32 v7, v7, v36
	v_fmac_f32_e32 v24, -0.5, v37
	v_add_f32_e32 v35, v35, v36
	v_add_f32_e32 v36, v38, v42
	v_fmamk_f32 v37, v44, 0x3f5db3d7, v17
	v_fmamk_f32 v38, v51, 0xbf5db3d7, v18
	v_fmac_f32_e32 v17, 0xbf5db3d7, v44
	v_fmac_f32_e32 v18, 0x3f5db3d7, v51
	v_fmamk_f32 v39, v56, 0x3f5db3d7, v19
	v_fmamk_f32 v40, v58, 0xbf5db3d7, v20
	v_fmac_f32_e32 v19, 0xbf5db3d7, v56
	v_fmac_f32_e32 v20, 0x3f5db3d7, v58
	v_add_f32_e32 v33, v48, v61
	v_fmamk_f32 v41, v64, 0x3f5db3d7, v21
	v_fmac_f32_e32 v21, 0xbf5db3d7, v64
	v_fmamk_f32 v42, v43, 0xbf5db3d7, v22
	v_fmac_f32_e32 v22, 0x3f5db3d7, v43
	;; [unrolled: 2-line block ×4, first 2 shown]
	s_barrier
	buffer_gl0_inv
	ds_write2_b64 v63, v[29:30], v[37:38] offset1:108
	ds_write_b64 v63, v[17:18] offset:1728
	ds_write2_b64 v45, v[31:32], v[39:40] offset1:108
	ds_write_b64 v45, v[19:20] offset:1728
	ds_write2_b64 v47, v[33:34], v[41:42] offset1:108
	ds_write_b64 v47, v[21:22] offset:1728
	ds_write2_b64 v55, v[35:36], v[43:44] offset1:108
	ds_write_b64 v55, v[23:24] offset:1728
	s_waitcnt lgkmcnt(0)
	s_barrier
	buffer_gl0_inv
	s_clause 0x1
	global_load_dwordx4 v[17:20], v[25:26], off offset:496
	global_load_dwordx4 v[21:24], v[27:28], off offset:496
	v_lshlrev_b32_e32 v7, 4, v62
	v_add_co_u32 v25, s0, s12, v54
	v_add_co_ci_u32_e64 v26, null, s13, 0, s0
	v_add_co_u32 v7, s0, s12, v7
	v_add_co_ci_u32_e64 v27, null, s13, 0, s0
	v_add_co_u32 v25, s0, 0x800, v25
	v_add_co_ci_u32_e64 v26, s0, 0, v26, s0
	v_add_co_u32 v29, s0, 0x800, v7
	v_add_co_ci_u32_e64 v30, s0, 0, v27, s0
	s_clause 0x1
	global_load_dwordx4 v[25:28], v[25:26], off offset:496
	global_load_dwordx4 v[29:32], v[29:30], off offset:496
	v_cmp_lt_u32_e64 s0, 0x50, v3
	v_lshlrev_b32_e32 v7, 1, v13
	v_lshlrev_b32_e32 v34, 3, v49
	v_lshlrev_b32_sdwa v42, v16, v53 dst_sel:DWORD dst_unused:UNUSED_PAD src0_sel:DWORD src1_sel:WORD_0
	v_mul_u32_u24_e32 v41, 0x1e60, v52
	v_cndmask_b32_e64 v33, 0, 0x1e60, s0
	v_lshlrev_b64 v[37:38], 3, v[7:8]
	v_lshlrev_b32_e32 v7, 1, v15
	v_add_co_u32 v45, s0, 0x1800, v50
	v_add3_u32 v51, 0, v33, v34
	ds_read2_b64 v[33:36], v9 offset0:12 offset1:255
	v_lshlrev_b64 v[39:40], 3, v[7:8]
	v_lshlrev_b32_e32 v7, 1, v14
	ds_read2_b64 v[13:16], v11 offset0:8 offset1:251
	v_add_co_ci_u32_e64 v46, s0, 0, v57, s0
	v_add_co_u32 v37, s0, s12, v37
	v_add_co_ci_u32_e64 v38, s0, s13, v38, s0
	v_lshlrev_b64 v[47:48], 3, v[7:8]
	v_add_co_u32 v49, s0, 0x1800, v37
	v_add_co_ci_u32_e64 v50, s0, 0, v38, s0
	v_add_co_u32 v7, s0, s12, v39
	v_add3_u32 v52, 0, v41, v42
	v_add_co_ci_u32_e64 v54, s0, s13, v40, s0
	ds_read2_b64 v[37:40], v10 offset0:2 offset1:245
	ds_read2_b64 v[41:44], v12 offset0:6 offset1:249
	v_lshl_add_u32 v53, v62, 3, 0
	s_waitcnt vmcnt(3) lgkmcnt(3)
	v_mul_f32_e32 v55, v18, v34
	v_mul_f32_e32 v56, v18, v33
	s_waitcnt lgkmcnt(2)
	v_mul_f32_e32 v18, v20, v14
	v_mul_f32_e32 v57, v20, v13
	s_waitcnt vmcnt(2)
	v_mul_f32_e32 v20, v22, v36
	v_mul_f32_e32 v22, v22, v35
	;; [unrolled: 1-line block ×3, first 2 shown]
	v_fma_f32 v33, v17, v33, -v55
	v_fmac_f32_e32 v56, v17, v34
	v_fma_f32 v34, v19, v13, -v18
	v_fmac_f32_e32 v57, v19, v14
	v_mul_f32_e32 v24, v24, v15
	v_fma_f32 v35, v21, v35, -v20
	ds_read2_b64 v[17:20], v0 offset1:243
	v_fmac_f32_e32 v22, v21, v36
	v_fma_f32 v36, v23, v15, -v58
	v_fmac_f32_e32 v24, v23, v16
	ds_read2_b64 v[13:16], v4 offset0:6 offset1:249
	s_waitcnt vmcnt(0) lgkmcnt(0)
	s_barrier
	v_mul_f32_e32 v21, v26, v38
	v_mul_f32_e32 v23, v26, v37
	;; [unrolled: 1-line block ×8, first 2 shown]
	v_fma_f32 v21, v25, v37, -v21
	v_fmac_f32_e32 v23, v25, v38
	v_fma_f32 v25, v41, v27, -v26
	v_fmac_f32_e32 v28, v42, v27
	v_fma_f32 v26, v39, v29, -v55
	v_fmac_f32_e32 v30, v40, v29
	v_fma_f32 v27, v43, v31, -v58
	v_fmac_f32_e32 v32, v44, v31
	v_add_f32_e32 v29, v17, v33
	v_add_f32_e32 v31, v33, v34
	;; [unrolled: 1-line block ×5, first 2 shown]
	v_sub_f32_e32 v37, v56, v57
	v_add_f32_e32 v38, v18, v56
	v_add_f32_e32 v55, v13, v21
	;; [unrolled: 1-line block ×4, first 2 shown]
	v_sub_f32_e32 v61, v21, v25
	v_add_f32_e32 v63, v26, v27
	v_sub_f32_e32 v64, v30, v32
	v_add_f32_e32 v21, v29, v34
	v_add_f32_e32 v29, v16, v30
	;; [unrolled: 1-line block ×3, first 2 shown]
	v_sub_f32_e32 v33, v33, v34
	v_add_f32_e32 v59, v14, v23
	v_fma_f32 v17, -0.5, v31, v17
	v_fma_f32 v18, -0.5, v39, v18
	v_add_f32_e32 v40, v19, v35
	v_add_f32_e32 v43, v20, v22
	v_sub_f32_e32 v42, v22, v24
	v_sub_f32_e32 v35, v35, v36
	v_fma_f32 v19, -0.5, v41, v19
	v_fmac_f32_e32 v20, -0.5, v44
	v_sub_f32_e32 v58, v23, v28
	v_add_f32_e32 v62, v15, v26
	v_add_f32_e32 v22, v38, v57
	v_sub_f32_e32 v38, v26, v27
	v_fma_f32 v13, -0.5, v56, v13
	v_fma_f32 v14, -0.5, v60, v14
	;; [unrolled: 1-line block ×3, first 2 shown]
	v_fmac_f32_e32 v16, -0.5, v30
	v_add_f32_e32 v26, v59, v28
	v_add_f32_e32 v28, v29, v32
	v_fmamk_f32 v29, v37, 0x3f5db3d7, v17
	v_fmamk_f32 v30, v33, 0xbf5db3d7, v18
	v_fmac_f32_e32 v17, 0xbf5db3d7, v37
	v_fmac_f32_e32 v18, 0x3f5db3d7, v33
	v_add_f32_e32 v23, v40, v36
	v_add_f32_e32 v24, v43, v24
	v_fmamk_f32 v31, v42, 0x3f5db3d7, v19
	v_fmamk_f32 v32, v35, 0xbf5db3d7, v20
	buffer_gl0_inv
	v_add_f32_e32 v25, v55, v25
	v_add_f32_e32 v27, v62, v27
	v_fmac_f32_e32 v19, 0xbf5db3d7, v42
	v_fmac_f32_e32 v20, 0x3f5db3d7, v35
	v_fmamk_f32 v33, v58, 0x3f5db3d7, v13
	v_fmac_f32_e32 v13, 0xbf5db3d7, v58
	v_fmamk_f32 v34, v61, 0xbf5db3d7, v14
	;; [unrolled: 2-line block ×4, first 2 shown]
	v_fmac_f32_e32 v16, 0x3f5db3d7, v38
	ds_write_b64 v0, v[21:22]
	ds_write_b64 v0, v[29:30] offset:2592
	ds_write_b64 v0, v[17:18] offset:5184
	ds_write_b64 v51, v[23:24]
	ds_write_b64 v51, v[31:32] offset:2592
	ds_write_b64 v51, v[19:20] offset:5184
	;; [unrolled: 3-line block ×3, first 2 shown]
	ds_write_b64 v53, v[27:28] offset:15552
	ds_write_b64 v53, v[35:36] offset:18144
	;; [unrolled: 1-line block ×3, first 2 shown]
	v_add_co_u32 v21, s0, 0x1800, v7
	v_add_co_ci_u32_e64 v22, s0, 0, v54, s0
	v_add_co_u32 v7, s0, s12, v47
	v_add_co_ci_u32_e64 v26, s0, s13, v48, s0
	s_waitcnt lgkmcnt(0)
	v_add_co_u32 v25, s0, 0x1800, v7
	s_barrier
	buffer_gl0_inv
	s_clause 0x1
	global_load_dwordx4 v[13:16], v[45:46], off offset:1584
	global_load_dwordx4 v[17:20], v[49:50], off offset:1584
	v_add_co_ci_u32_e64 v26, s0, 0, v26, s0
	s_clause 0x1
	global_load_dwordx4 v[21:24], v[21:22], off offset:1584
	global_load_dwordx4 v[25:28], v[25:26], off offset:1584
	ds_read2_b64 v[29:32], v9 offset0:12 offset1:255
	ds_read2_b64 v[33:36], v11 offset0:8 offset1:251
	;; [unrolled: 1-line block ×4, first 2 shown]
	ds_read2_b64 v[45:48], v0 offset1:243
	ds_read2_b64 v[49:52], v4 offset0:6 offset1:249
	s_waitcnt vmcnt(0) lgkmcnt(0)
	s_barrier
	buffer_gl0_inv
	v_mul_f32_e32 v7, v14, v30
	v_mul_f32_e32 v14, v14, v29
	;; [unrolled: 1-line block ×10, first 2 shown]
	v_fma_f32 v7, v13, v29, -v7
	v_fmac_f32_e32 v14, v13, v30
	v_fma_f32 v13, v15, v33, -v53
	v_fmac_f32_e32 v16, v15, v34
	v_mul_f32_e32 v15, v42, v24
	v_mul_f32_e32 v24, v41, v24
	;; [unrolled: 1-line block ×4, first 2 shown]
	v_fma_f32 v30, v17, v31, -v54
	v_fmac_f32_e32 v18, v17, v32
	v_mul_f32_e32 v17, v44, v28
	v_mul_f32_e32 v28, v43, v28
	v_fma_f32 v31, v19, v35, -v55
	v_fmac_f32_e32 v20, v19, v36
	v_fma_f32 v19, v21, v37, -v56
	v_fmac_f32_e32 v22, v21, v38
	;; [unrolled: 2-line block ×5, first 2 shown]
	v_add_f32_e32 v25, v7, v13
	v_add_f32_e32 v29, v46, v14
	;; [unrolled: 1-line block ×7, first 2 shown]
	v_sub_f32_e32 v40, v22, v24
	v_add_f32_e32 v41, v50, v22
	v_add_f32_e32 v22, v22, v24
	;; [unrolled: 1-line block ×3, first 2 shown]
	v_sub_f32_e32 v53, v26, v28
	v_add_f32_e32 v54, v52, v26
	v_add_f32_e32 v26, v26, v28
	;; [unrolled: 1-line block ×6, first 2 shown]
	v_sub_f32_e32 v27, v14, v16
	v_sub_f32_e32 v7, v7, v13
	;; [unrolled: 1-line block ×5, first 2 shown]
	v_fma_f32 v15, -0.5, v25, v45
	v_add_f32_e32 v14, v29, v16
	v_fma_f32 v16, -0.5, v32, v46
	v_fma_f32 v47, -0.5, v34, v47
	v_fmac_f32_e32 v48, -0.5, v37
	v_sub_f32_e32 v42, v19, v21
	v_add_f32_e32 v19, v38, v21
	v_fma_f32 v21, -0.5, v39, v49
	v_fma_f32 v22, -0.5, v22, v50
	;; [unrolled: 1-line block ×3, first 2 shown]
	v_fmac_f32_e32 v52, -0.5, v26
	v_add_f32_e32 v13, v17, v13
	v_add_f32_e32 v17, v33, v31
	;; [unrolled: 1-line block ×6, first 2 shown]
	v_fmamk_f32 v25, v27, 0x3f5db3d7, v15
	v_fmac_f32_e32 v15, 0xbf5db3d7, v27
	v_fmamk_f32 v26, v7, 0xbf5db3d7, v16
	v_fmamk_f32 v27, v35, 0x3f5db3d7, v47
	;; [unrolled: 1-line block ×3, first 2 shown]
	v_fmac_f32_e32 v16, 0x3f5db3d7, v7
	v_fmac_f32_e32 v47, 0xbf5db3d7, v35
	;; [unrolled: 1-line block ×3, first 2 shown]
	v_fmamk_f32 v29, v40, 0x3f5db3d7, v21
	v_fmamk_f32 v30, v42, 0xbf5db3d7, v22
	;; [unrolled: 1-line block ×4, first 2 shown]
	v_fmac_f32_e32 v21, 0xbf5db3d7, v40
	v_fmac_f32_e32 v22, 0x3f5db3d7, v42
	;; [unrolled: 1-line block ×4, first 2 shown]
	ds_write2_b64 v0, v[13:14], v[17:18] offset1:243
	ds_write2_b64 v4, v[19:20], v[23:24] offset0:6 offset1:249
	ds_write2_b64 v9, v[25:26], v[27:28] offset0:12 offset1:255
	;; [unrolled: 1-line block ×5, first 2 shown]
	s_waitcnt lgkmcnt(0)
	s_barrier
	buffer_gl0_inv
	s_and_saveexec_b32 s0, vcc_lo
	s_cbranch_execz .LBB0_21
; %bb.20:
	v_mul_lo_u32 v0, s3, v5
	v_mul_lo_u32 v4, s2, v6
	v_mad_u64_u32 v[5:6], null, s2, v5, 0
	v_lshl_add_u32 v21, v3, 3, 0
	v_add_nc_u32_e32 v7, 0xf3, v3
	ds_read2_b64 v[9:12], v21 offset1:243
	v_add3_u32 v6, v6, v4, v0
	v_mov_b32_e32 v4, v8
	v_lshlrev_b64 v[0:1], 3, v[1:2]
	v_lshlrev_b64 v[15:16], 3, v[7:8]
	v_add_nc_u32_e32 v7, 0x1e6, v3
	v_lshlrev_b64 v[5:6], 3, v[5:6]
	v_lshlrev_b64 v[13:14], 3, v[3:4]
	;; [unrolled: 1-line block ×3, first 2 shown]
	v_add_nc_u32_e32 v7, 0x2d9, v3
	v_add_co_u32 v2, vcc_lo, s10, v5
	v_add_co_ci_u32_e32 v4, vcc_lo, s11, v6, vcc_lo
	v_add_nc_u32_e32 v6, 0x2d80, v21
	v_add_co_u32 v23, vcc_lo, v2, v0
	v_add_co_ci_u32_e32 v24, vcc_lo, v4, v1, vcc_lo
	v_add_nc_u32_e32 v2, 0xf00, v21
	v_add_co_u32 v0, vcc_lo, v23, v13
	v_add_co_ci_u32_e32 v1, vcc_lo, v24, v14, vcc_lo
	v_add_co_u32 v4, vcc_lo, v23, v15
	v_add_co_ci_u32_e32 v5, vcc_lo, v24, v16, vcc_lo
	ds_read2_b64 v[13:16], v2 offset0:6 offset1:249
	s_waitcnt lgkmcnt(1)
	global_store_dwordx2 v[0:1], v[9:10], off
	global_store_dwordx2 v[4:5], v[11:12], off
	v_lshlrev_b64 v[0:1], 3, v[7:8]
	v_add_co_u32 v4, vcc_lo, v23, v17
	v_add_co_ci_u32_e32 v5, vcc_lo, v24, v18, vcc_lo
	v_add_nc_u32_e32 v7, 0x3cc, v3
	v_add_co_u32 v0, vcc_lo, v23, v0
	v_add_co_ci_u32_e32 v1, vcc_lo, v24, v1, vcc_lo
	v_add_nc_u32_e32 v2, 0x1e00, v21
	v_lshlrev_b64 v[17:18], 3, v[7:8]
	v_add_nc_u32_e32 v7, 0x4bf, v3
	s_waitcnt lgkmcnt(0)
	global_store_dwordx2 v[4:5], v[13:14], off
	global_store_dwordx2 v[0:1], v[15:16], off
	ds_read2_b64 v[9:12], v2 offset0:12 offset1:255
	ds_read2_b64 v[13:16], v6 offset0:2 offset1:245
	v_lshlrev_b64 v[0:1], 3, v[7:8]
	v_add_nc_u32_e32 v7, 0x5b2, v3
	v_add_co_u32 v4, vcc_lo, v23, v17
	v_add_co_ci_u32_e32 v5, vcc_lo, v24, v18, vcc_lo
	v_lshlrev_b64 v[17:18], 3, v[7:8]
	v_add_nc_u32_e32 v7, 0x6a5, v3
	v_add_co_u32 v0, vcc_lo, v23, v0
	v_add_co_ci_u32_e32 v1, vcc_lo, v24, v1, vcc_lo
	v_add_co_u32 v17, vcc_lo, v23, v17
	v_lshlrev_b64 v[19:20], 3, v[7:8]
	v_add_nc_u32_e32 v7, 0x798, v3
	v_add_co_ci_u32_e32 v18, vcc_lo, v24, v18, vcc_lo
	s_waitcnt lgkmcnt(1)
	global_store_dwordx2 v[4:5], v[9:10], off
	global_store_dwordx2 v[0:1], v[11:12], off
	s_waitcnt lgkmcnt(0)
	global_store_dwordx2 v[17:18], v[13:14], off
	v_add_nc_u32_e32 v2, 0x3c80, v21
	v_lshlrev_b64 v[0:1], 3, v[7:8]
	v_add_nc_u32_e32 v7, 0x88b, v3
	v_add_nc_u32_e32 v6, 0x4bc0, v21
	v_add_co_u32 v4, vcc_lo, v23, v19
	ds_read2_b64 v[9:12], v2 offset0:8 offset1:251
	v_lshlrev_b64 v[13:14], 3, v[7:8]
	v_add_nc_u32_e32 v7, 0x97e, v3
	v_add_co_ci_u32_e32 v5, vcc_lo, v24, v20, vcc_lo
	ds_read2_b64 v[17:20], v6 offset0:6 offset1:249
	v_add_co_u32 v0, vcc_lo, v23, v0
	v_lshlrev_b64 v[21:22], 3, v[7:8]
	v_add_nc_u32_e32 v7, 0xa71, v3
	v_add_co_ci_u32_e32 v1, vcc_lo, v24, v1, vcc_lo
	v_add_co_u32 v2, vcc_lo, v23, v13
	v_lshlrev_b64 v[6:7], 3, v[7:8]
	v_add_co_ci_u32_e32 v3, vcc_lo, v24, v14, vcc_lo
	v_add_co_u32 v13, vcc_lo, v23, v21
	v_add_co_ci_u32_e32 v14, vcc_lo, v24, v22, vcc_lo
	v_add_co_u32 v6, vcc_lo, v23, v6
	v_add_co_ci_u32_e32 v7, vcc_lo, v24, v7, vcc_lo
	global_store_dwordx2 v[4:5], v[15:16], off
	s_waitcnt lgkmcnt(1)
	global_store_dwordx2 v[0:1], v[9:10], off
	global_store_dwordx2 v[2:3], v[11:12], off
	s_waitcnt lgkmcnt(0)
	global_store_dwordx2 v[13:14], v[17:18], off
	global_store_dwordx2 v[6:7], v[19:20], off
.LBB0_21:
	s_endpgm
	.section	.rodata,"a",@progbits
	.p2align	6, 0x0
	.amdhsa_kernel fft_rtc_fwd_len2916_factors_6_6_3_3_3_3_wgs_243_tpt_243_halfLds_sp_op_CI_CI_unitstride_sbrr_C2R_dirReg
		.amdhsa_group_segment_fixed_size 0
		.amdhsa_private_segment_fixed_size 0
		.amdhsa_kernarg_size 104
		.amdhsa_user_sgpr_count 6
		.amdhsa_user_sgpr_private_segment_buffer 1
		.amdhsa_user_sgpr_dispatch_ptr 0
		.amdhsa_user_sgpr_queue_ptr 0
		.amdhsa_user_sgpr_kernarg_segment_ptr 1
		.amdhsa_user_sgpr_dispatch_id 0
		.amdhsa_user_sgpr_flat_scratch_init 0
		.amdhsa_user_sgpr_private_segment_size 0
		.amdhsa_wavefront_size32 1
		.amdhsa_uses_dynamic_stack 0
		.amdhsa_system_sgpr_private_segment_wavefront_offset 0
		.amdhsa_system_sgpr_workgroup_id_x 1
		.amdhsa_system_sgpr_workgroup_id_y 0
		.amdhsa_system_sgpr_workgroup_id_z 0
		.amdhsa_system_sgpr_workgroup_info 0
		.amdhsa_system_vgpr_workitem_id 0
		.amdhsa_next_free_vgpr 66
		.amdhsa_next_free_sgpr 27
		.amdhsa_reserve_vcc 1
		.amdhsa_reserve_flat_scratch 0
		.amdhsa_float_round_mode_32 0
		.amdhsa_float_round_mode_16_64 0
		.amdhsa_float_denorm_mode_32 3
		.amdhsa_float_denorm_mode_16_64 3
		.amdhsa_dx10_clamp 1
		.amdhsa_ieee_mode 1
		.amdhsa_fp16_overflow 0
		.amdhsa_workgroup_processor_mode 1
		.amdhsa_memory_ordered 1
		.amdhsa_forward_progress 0
		.amdhsa_shared_vgpr_count 0
		.amdhsa_exception_fp_ieee_invalid_op 0
		.amdhsa_exception_fp_denorm_src 0
		.amdhsa_exception_fp_ieee_div_zero 0
		.amdhsa_exception_fp_ieee_overflow 0
		.amdhsa_exception_fp_ieee_underflow 0
		.amdhsa_exception_fp_ieee_inexact 0
		.amdhsa_exception_int_div_zero 0
	.end_amdhsa_kernel
	.text
.Lfunc_end0:
	.size	fft_rtc_fwd_len2916_factors_6_6_3_3_3_3_wgs_243_tpt_243_halfLds_sp_op_CI_CI_unitstride_sbrr_C2R_dirReg, .Lfunc_end0-fft_rtc_fwd_len2916_factors_6_6_3_3_3_3_wgs_243_tpt_243_halfLds_sp_op_CI_CI_unitstride_sbrr_C2R_dirReg
                                        ; -- End function
	.section	.AMDGPU.csdata,"",@progbits
; Kernel info:
; codeLenInByte = 9032
; NumSgprs: 29
; NumVgprs: 66
; ScratchSize: 0
; MemoryBound: 0
; FloatMode: 240
; IeeeMode: 1
; LDSByteSize: 0 bytes/workgroup (compile time only)
; SGPRBlocks: 3
; VGPRBlocks: 8
; NumSGPRsForWavesPerEU: 29
; NumVGPRsForWavesPerEU: 66
; Occupancy: 12
; WaveLimiterHint : 1
; COMPUTE_PGM_RSRC2:SCRATCH_EN: 0
; COMPUTE_PGM_RSRC2:USER_SGPR: 6
; COMPUTE_PGM_RSRC2:TRAP_HANDLER: 0
; COMPUTE_PGM_RSRC2:TGID_X_EN: 1
; COMPUTE_PGM_RSRC2:TGID_Y_EN: 0
; COMPUTE_PGM_RSRC2:TGID_Z_EN: 0
; COMPUTE_PGM_RSRC2:TIDIG_COMP_CNT: 0
	.text
	.p2alignl 6, 3214868480
	.fill 48, 4, 3214868480
	.type	__hip_cuid_b52e67f94aaaaf2b,@object ; @__hip_cuid_b52e67f94aaaaf2b
	.section	.bss,"aw",@nobits
	.globl	__hip_cuid_b52e67f94aaaaf2b
__hip_cuid_b52e67f94aaaaf2b:
	.byte	0                               ; 0x0
	.size	__hip_cuid_b52e67f94aaaaf2b, 1

	.ident	"AMD clang version 19.0.0git (https://github.com/RadeonOpenCompute/llvm-project roc-6.4.0 25133 c7fe45cf4b819c5991fe208aaa96edf142730f1d)"
	.section	".note.GNU-stack","",@progbits
	.addrsig
	.addrsig_sym __hip_cuid_b52e67f94aaaaf2b
	.amdgpu_metadata
---
amdhsa.kernels:
  - .args:
      - .actual_access:  read_only
        .address_space:  global
        .offset:         0
        .size:           8
        .value_kind:     global_buffer
      - .offset:         8
        .size:           8
        .value_kind:     by_value
      - .actual_access:  read_only
        .address_space:  global
        .offset:         16
        .size:           8
        .value_kind:     global_buffer
      - .actual_access:  read_only
        .address_space:  global
        .offset:         24
        .size:           8
        .value_kind:     global_buffer
      - .actual_access:  read_only
        .address_space:  global
        .offset:         32
        .size:           8
        .value_kind:     global_buffer
      - .offset:         40
        .size:           8
        .value_kind:     by_value
      - .actual_access:  read_only
        .address_space:  global
        .offset:         48
        .size:           8
        .value_kind:     global_buffer
      - .actual_access:  read_only
        .address_space:  global
        .offset:         56
        .size:           8
        .value_kind:     global_buffer
      - .offset:         64
        .size:           4
        .value_kind:     by_value
      - .actual_access:  read_only
        .address_space:  global
        .offset:         72
        .size:           8
        .value_kind:     global_buffer
      - .actual_access:  read_only
        .address_space:  global
        .offset:         80
        .size:           8
        .value_kind:     global_buffer
      - .actual_access:  read_only
        .address_space:  global
        .offset:         88
        .size:           8
        .value_kind:     global_buffer
      - .actual_access:  write_only
        .address_space:  global
        .offset:         96
        .size:           8
        .value_kind:     global_buffer
    .group_segment_fixed_size: 0
    .kernarg_segment_align: 8
    .kernarg_segment_size: 104
    .language:       OpenCL C
    .language_version:
      - 2
      - 0
    .max_flat_workgroup_size: 243
    .name:           fft_rtc_fwd_len2916_factors_6_6_3_3_3_3_wgs_243_tpt_243_halfLds_sp_op_CI_CI_unitstride_sbrr_C2R_dirReg
    .private_segment_fixed_size: 0
    .sgpr_count:     29
    .sgpr_spill_count: 0
    .symbol:         fft_rtc_fwd_len2916_factors_6_6_3_3_3_3_wgs_243_tpt_243_halfLds_sp_op_CI_CI_unitstride_sbrr_C2R_dirReg.kd
    .uniform_work_group_size: 1
    .uses_dynamic_stack: false
    .vgpr_count:     66
    .vgpr_spill_count: 0
    .wavefront_size: 32
    .workgroup_processor_mode: 1
amdhsa.target:   amdgcn-amd-amdhsa--gfx1030
amdhsa.version:
  - 1
  - 2
...

	.end_amdgpu_metadata
